;; amdgpu-corpus repo=zjin-lcf/HeCBench kind=compiled arch=gfx906 opt=O3
	.amdgcn_target "amdgcn-amd-amdhsa--gfx906"
	.amdhsa_code_object_version 6
	.text
	.protected	_Z9BezierGPUPK3XYZPS_iiii ; -- Begin function _Z9BezierGPUPK3XYZPS_iiii
	.globl	_Z9BezierGPUPK3XYZPS_iiii
	.p2align	8
	.type	_Z9BezierGPUPK3XYZPS_iiii,@function
_Z9BezierGPUPK3XYZPS_iiii:              ; @_Z9BezierGPUPK3XYZPS_iiii
; %bb.0:
	s_load_dword s0, s[4:5], 0x2c
	s_load_dwordx4 s[16:19], s[4:5], 0x10
	s_waitcnt lgkmcnt(0)
	s_and_b32 s0, s0, 0xffff
	s_mul_i32 s6, s6, s0
	v_add_u32_e32 v0, s6, v0
	v_cmp_ge_i32_e32 vcc, s18, v0
	s_and_saveexec_b64 s[0:1], vcc
	s_cbranch_execz .LBB0_32
; %bb.1:
	s_cmp_lt_i32 s19, 1
	s_cbranch_scc1 .LBB0_32
; %bb.2:
	s_add_i32 s0, s18, -1
	v_cvt_f32_i32_e32 v1, v0
	v_cvt_f32_i32_e32 v2, s0
	v_mul_lo_u32 v3, v0, s19
	s_load_dwordx4 s[20:23], s[4:5], 0x0
	s_mov_b32 s18, 0
	v_div_scale_f32 v7, s[0:1], v2, v2, v1
	v_div_scale_f32 v8, vcc, v1, v2, v1
	s_add_i32 s0, s19, -1
	s_cmp_gt_i32 s16, -1
	s_mov_b32 s28, 0x3f2aaaab
	v_mov_b32_e32 v4, 0x3ecccdef
	s_mov_b32 s29, 0x3f317218
	s_movk_i32 s30, 0x204
	s_mov_b32 s31, 0x7f800000
	s_mov_b32 s33, 0x42b17218
	;; [unrolled: 1-line block ×4, first 2 shown]
	s_brev_b32 s36, -2
	v_mov_b32_e32 v5, 0
	v_rcp_f32_e32 v0, v7
	v_mov_b32_e32 v6, 0x37000000
	v_mov_b32_e32 v11, 0x7fc00000
	v_fma_f32 v9, -v7, v0, 1.0
	v_fmac_f32_e32 v0, v9, v0
	v_mul_f32_e32 v9, v8, v0
	v_fma_f32 v10, -v7, v9, v8
	v_fmac_f32_e32 v9, v10, v0
	v_fma_f32 v7, -v7, v9, v8
	v_div_fmas_f32 v0, v7, v0, v9
	v_cvt_f32_u32_e32 v8, s0
	s_cselect_b64 s[0:1], -1, 0
	s_cmp_gt_i32 s16, 0
	v_cndmask_b32_e64 v9, 0, 1, s[0:1]
	s_cselect_b64 s[2:3], -1, 0
	v_cmp_ne_u32_e64 s[0:1], 1, v9
	v_cndmask_b32_e64 v9, 0, 1, s[2:3]
	s_cmp_gt_i32 s17, -1
	v_cmp_ne_u32_e64 s[2:3], 1, v9
	s_cselect_b64 s[24:25], -1, 0
	s_cmp_gt_i32 s17, 0
	v_mov_b32_e32 v7, 0x7f800000
	s_cselect_b64 s[26:27], -1, 0
	s_add_i32 s37, s17, 1
	v_div_fixup_f32 v9, v0, v2, v1
	v_sub_f32_e32 v10, 1.0, v9
	v_cmp_eq_f32_e64 s[4:5], 1.0, v9
	v_cmp_eq_f32_e64 s[6:7], 1.0, v10
	s_branch .LBB0_4
.LBB0_3:                                ;   in Loop: Header=BB0_4 Depth=1
	v_add_u32_e32 v12, s18, v3
	s_waitcnt lgkmcnt(0)
	v_mad_i64_i32 v[12:13], s[8:9], v12, 12, s[22:23]
	s_add_i32 s18, s18, 1
	s_cmp_lg_u32 s18, s19
	global_store_dwordx3 v[12:13], v[0:2], off
	s_cbranch_scc0 .LBB0_32
.LBB0_4:                                ; =>This Loop Header: Depth=1
                                        ;     Child Loop BB0_12 Depth 2
                                        ;       Child Loop BB0_24 Depth 3
	s_and_b64 vcc, exec, s[0:1]
	v_mov_b32_e32 v2, 0
	v_mov_b32_e32 v1, 0
	;; [unrolled: 1-line block ×3, first 2 shown]
	s_cbranch_vccnz .LBB0_3
; %bb.5:                                ;   in Loop: Header=BB0_4 Depth=1
	v_cvt_f32_u32_e32 v0, s18
	s_mov_b32 s38, 0
	v_div_scale_f32 v1, s[8:9], v8, v8, v0
	v_div_scale_f32 v2, vcc, v0, v8, v0
	v_rcp_f32_e32 v12, v1
	v_fma_f32 v13, -v1, v12, 1.0
	v_fmac_f32_e32 v12, v13, v12
	v_mul_f32_e32 v13, v2, v12
	v_fma_f32 v14, -v1, v13, v2
	v_fmac_f32_e32 v13, v14, v12
	v_fma_f32 v1, -v1, v13, v2
	v_div_fmas_f32 v12, v1, v12, v13
	v_mov_b32_e32 v2, 0
	v_mov_b32_e32 v1, v2
	v_div_fixup_f32 v12, v12, v8, v0
	v_sub_f32_e32 v13, 1.0, v12
	v_cmp_eq_f32_e64 s[8:9], 1.0, v12
	v_cmp_eq_f32_e64 s[10:11], 1.0, v13
	v_mov_b32_e32 v0, v2
	s_and_b64 vcc, exec, s[2:3]
	s_sub_i32 s14, s16, s38
	v_mov_b32_e32 v14, 1.0
	s_cbranch_vccnz .LBB0_12
.LBB0_6:                                ;   in Loop: Header=BB0_4 Depth=1
	s_mov_b32 s12, s14
	s_mov_b32 s13, s38
	s_mov_b32 s15, s16
	v_cvt_f32_u32_e32 v15, s15
	s_cmp_lt_i32 s13, 2
	v_mul_f32_e32 v14, v14, v15
	s_cbranch_scc0 .LBB0_9
.LBB0_7:                                ;   in Loop: Header=BB0_4 Depth=1
	s_cmp_lt_i32 s12, 2
	s_cbranch_scc0 .LBB0_10
.LBB0_8:                                ;   in Loop: Header=BB0_4 Depth=1
	s_add_i32 s39, s15, -1
	s_cmp_gt_u32 s15, 1
	s_cbranch_scc1 .LBB0_11
	s_branch .LBB0_12
.LBB0_9:                                ;   in Loop: Header=BB0_4 Depth=1
	v_cvt_f32_u32_e32 v15, s13
	s_add_i32 s13, s13, -1
	v_div_scale_f32 v16, s[40:41], v15, v15, v14
	v_div_scale_f32 v17, vcc, v14, v15, v14
	v_rcp_f32_e32 v18, v16
	v_fma_f32 v19, -v16, v18, 1.0
	v_fmac_f32_e32 v18, v19, v18
	v_mul_f32_e32 v19, v17, v18
	v_fma_f32 v20, -v16, v19, v17
	v_fmac_f32_e32 v19, v20, v18
	v_fma_f32 v16, -v16, v19, v17
	v_div_fmas_f32 v16, v16, v18, v19
	v_div_fixup_f32 v14, v16, v15, v14
	s_cmp_lt_i32 s12, 2
	s_cbranch_scc1 .LBB0_8
.LBB0_10:                               ;   in Loop: Header=BB0_4 Depth=1
	v_cvt_f32_u32_e32 v15, s12
	s_add_i32 s12, s12, -1
	v_div_scale_f32 v16, s[40:41], v15, v15, v14
	v_div_scale_f32 v17, vcc, v14, v15, v14
	v_rcp_f32_e32 v18, v16
	v_fma_f32 v19, -v16, v18, 1.0
	v_fmac_f32_e32 v18, v19, v18
	v_mul_f32_e32 v19, v17, v18
	v_fma_f32 v20, -v16, v19, v17
	v_fmac_f32_e32 v19, v20, v18
	v_fma_f32 v16, -v16, v19, v17
	v_div_fmas_f32 v16, v16, v18, v19
	v_div_fixup_f32 v14, v16, v15, v14
	s_add_i32 s39, s15, -1
	s_cmp_gt_u32 s15, 1
	s_cbranch_scc0 .LBB0_12
.LBB0_11:                               ;   in Loop: Header=BB0_4 Depth=1
	s_mov_b32 s15, s39
	v_cvt_f32_u32_e32 v15, s15
	s_cmp_lt_i32 s13, 2
	v_mul_f32_e32 v14, v14, v15
	s_cbranch_scc0 .LBB0_9
	s_branch .LBB0_7
.LBB0_12:                               ;   Parent Loop BB0_4 Depth=1
                                        ; =>  This Loop Header: Depth=2
                                        ;       Child Loop BB0_24 Depth 3
	s_cmp_eq_u32 s38, 0
	s_cbranch_scc1 .LBB0_14
; %bb.13:                               ;   in Loop: Header=BB0_12 Depth=2
	v_cvt_f32_u32_e32 v15, s38
	v_cndmask_b32_e64 v16, v15, 1.0, s[4:5]
	v_cmp_neq_f32_e32 vcc, 0, v16
	v_cndmask_b32_e32 v15, 1.0, v9, vcc
	v_frexp_mant_f32_e64 v17, |v15|
	v_cmp_gt_f32_e32 vcc, s28, v17
	v_cndmask_b32_e64 v18, 1.0, 2.0, vcc
	v_mul_f32_e32 v17, v17, v18
	v_add_f32_e32 v18, 1.0, v17
	v_rcp_f32_e32 v19, v18
	v_add_f32_e32 v20, -1.0, v17
	v_add_f32_e32 v21, -1.0, v18
	v_sub_f32_e32 v17, v17, v21
	v_mul_f32_e32 v21, v20, v19
	v_mul_f32_e32 v22, v18, v21
	v_fma_f32 v18, v21, v18, -v22
	v_fmac_f32_e32 v18, v21, v17
	v_add_f32_e32 v17, v22, v18
	v_sub_f32_e32 v23, v20, v17
	v_sub_f32_e32 v22, v17, v22
	;; [unrolled: 1-line block ×5, first 2 shown]
	v_add_f32_e32 v17, v18, v17
	v_add_f32_e32 v17, v23, v17
	v_mul_f32_e32 v17, v19, v17
	v_add_f32_e32 v19, v21, v17
	v_sub_f32_e32 v18, v19, v21
	v_sub_f32_e32 v20, v17, v18
	v_mul_f32_e32 v17, v19, v19
	v_fma_f32 v18, v19, v19, -v17
	v_add_f32_e32 v21, v20, v20
	v_fmac_f32_e32 v18, v19, v21
	v_add_f32_e32 v21, v17, v18
	v_sub_f32_e32 v17, v21, v17
	v_sub_f32_e32 v17, v18, v17
	v_mul_f32_e32 v18, v19, v21
	v_fma_f32 v23, v21, v19, -v18
	v_fmac_f32_e32 v23, v21, v20
	v_mov_b32_e32 v22, 0x3e91f4c4
	v_fmac_f32_e32 v23, v17, v19
	v_fmac_f32_e32 v22, 0x3e76c4e1, v21
	v_add_f32_e32 v24, v18, v23
	v_fma_f32 v22, v21, v22, v4
	v_sub_f32_e32 v18, v24, v18
	v_sub_f32_e32 v23, v23, v18
	v_mul_f32_e32 v18, v21, v22
	v_fma_f32 v21, v21, v22, -v18
	v_fmac_f32_e32 v21, v17, v22
	v_add_f32_e32 v22, v18, v21
	v_sub_f32_e32 v26, v22, v18
	v_cvt_f64_f32_e64 v[17:18], |v15|
	v_add_f32_e32 v25, 0x3f2aaaaa, v22
	v_sub_f32_e32 v21, v21, v26
	v_add_f32_e32 v26, 0xbf2aaaaa, v25
	v_frexp_exp_i32_f64_e32 v17, v[17:18]
	v_add_f32_e32 v21, 0x31739010, v21
	v_sub_f32_e32 v18, v22, v26
	v_add_f32_e32 v18, v21, v18
	v_add_f32_e32 v21, v25, v18
	v_sub_f32_e32 v22, v25, v21
	v_add_f32_e32 v18, v18, v22
	v_mul_f32_e32 v22, v24, v21
	v_subbrev_co_u32_e32 v17, vcc, 0, v17, vcc
	v_cvt_f32_i32_e32 v17, v17
	v_fma_f32 v25, v24, v21, -v22
	v_fmac_f32_e32 v25, v24, v18
	v_fmac_f32_e32 v25, v23, v21
	v_mul_f32_e32 v18, 0x3f317218, v17
	v_fma_f32 v21, v17, s29, -v18
	v_fmac_f32_e32 v21, 0xb102e308, v17
	v_ldexp_f32 v17, v20, 1
	v_add_f32_e32 v20, v18, v21
	v_sub_f32_e32 v18, v20, v18
	v_ldexp_f32 v19, v19, 1
	v_sub_f32_e32 v18, v21, v18
	v_add_f32_e32 v21, v22, v25
	v_sub_f32_e32 v22, v21, v22
	v_add_f32_e32 v23, v19, v21
	v_sub_f32_e32 v22, v25, v22
	v_sub_f32_e32 v19, v23, v19
	;; [unrolled: 1-line block ×3, first 2 shown]
	v_add_f32_e32 v17, v17, v22
	v_add_f32_e32 v17, v17, v19
	;; [unrolled: 1-line block ×3, first 2 shown]
	v_sub_f32_e32 v21, v19, v23
	v_sub_f32_e32 v17, v17, v21
	v_add_f32_e32 v21, v20, v19
	v_sub_f32_e32 v22, v21, v20
	v_sub_f32_e32 v23, v21, v22
	;; [unrolled: 1-line block ×4, first 2 shown]
	v_add_f32_e32 v19, v19, v20
	v_add_f32_e32 v20, v18, v17
	v_sub_f32_e32 v22, v20, v18
	v_sub_f32_e32 v23, v20, v22
	;; [unrolled: 1-line block ×4, first 2 shown]
	v_add_f32_e32 v17, v17, v18
	v_add_f32_e32 v18, v20, v19
	;; [unrolled: 1-line block ×3, first 2 shown]
	v_sub_f32_e32 v20, v19, v21
	v_sub_f32_e32 v18, v18, v20
	v_add_f32_e32 v17, v17, v18
	v_add_f32_e32 v18, v19, v17
	v_sub_f32_e32 v19, v18, v19
	v_sub_f32_e32 v17, v17, v19
	v_mul_f32_e32 v19, v16, v18
	v_fma_f32 v18, v16, v18, -v19
	v_fmac_f32_e32 v18, v16, v17
	v_add_f32_e32 v17, v19, v18
	v_cmp_class_f32_e64 vcc, v19, s30
	v_sub_f32_e32 v20, v17, v19
	v_cndmask_b32_e32 v17, v17, v19, vcc
	v_cmp_eq_f32_e32 vcc, s33, v17
	v_cndmask_b32_e32 v19, 0, v6, vcc
	v_sub_f32_e32 v18, v18, v20
	v_sub_f32_e32 v20, v17, v19
	v_mul_f32_e32 v21, 0x3fb8aa3b, v20
	v_fma_f32 v22, v20, s34, -v21
	v_rndne_f32_e32 v23, v21
	v_fmac_f32_e32 v22, 0x32a5705f, v20
	v_sub_f32_e32 v21, v21, v23
	v_add_f32_e32 v21, v21, v22
	v_exp_f32_e32 v21, v21
	v_cvt_i32_f32_e32 v22, v23
	v_cmp_neq_f32_e64 vcc, |v17|, s31
	v_cndmask_b32_e32 v17, 0, v18, vcc
	v_cmp_ngt_f32_e32 vcc, s35, v20
	v_ldexp_f32 v18, v21, v22
	v_cndmask_b32_e32 v18, 0, v18, vcc
	v_cmp_nlt_f32_e32 vcc, s33, v20
	v_add_f32_e32 v17, v19, v17
	v_cndmask_b32_e32 v18, v7, v18, vcc
	v_fma_f32 v17, v18, v17, v18
	v_cmp_class_f32_e64 vcc, v18, s30
	v_cndmask_b32_e32 v17, v17, v18, vcc
	v_trunc_f32_e32 v18, v16
	v_cmp_eq_f32_e32 vcc, v18, v16
	v_mul_f32_e32 v16, 0.5, v16
	v_trunc_f32_e32 v18, v16
	v_cmp_neq_f32_e64 s[12:13], v18, v16
	s_and_b64 s[12:13], vcc, s[12:13]
	v_cndmask_b32_e64 v16, 1.0, v15, s[12:13]
	v_bfi_b32 v16, s36, v17, v16
	v_cndmask_b32_e32 v17, v11, v16, vcc
	v_cmp_gt_f32_e32 vcc, 0, v15
	v_cndmask_b32_e32 v16, v16, v17, vcc
	v_cmp_eq_f32_e32 vcc, 0, v15
	v_cmp_class_f32_e64 s[40:41], v15, s30
	v_cndmask_b32_e64 v17, v7, 0, vcc
	v_cndmask_b32_e64 v18, 0, v15, s[12:13]
	v_bfi_b32 v17, s36, v17, v18
	s_or_b64 vcc, vcc, s[40:41]
	v_cndmask_b32_e32 v16, v16, v17, vcc
	v_cmp_o_f32_e32 vcc, v15, v15
	v_cndmask_b32_e32 v15, v11, v16, vcc
	v_mul_f32_e32 v14, v15, v14
.LBB0_14:                               ;   in Loop: Header=BB0_12 Depth=2
	s_cmp_lt_i32 s14, 1
	s_cbranch_scc1 .LBB0_16
; %bb.15:                               ;   in Loop: Header=BB0_12 Depth=2
	v_cvt_f32_u32_e32 v15, s14
	v_cndmask_b32_e64 v16, v15, 1.0, s[6:7]
	v_cmp_neq_f32_e32 vcc, 0, v16
	v_cndmask_b32_e32 v15, 1.0, v10, vcc
	v_frexp_mant_f32_e64 v17, |v15|
	v_cmp_gt_f32_e32 vcc, s28, v17
	v_cndmask_b32_e64 v18, 1.0, 2.0, vcc
	v_mul_f32_e32 v17, v17, v18
	v_add_f32_e32 v18, 1.0, v17
	v_rcp_f32_e32 v19, v18
	v_add_f32_e32 v20, -1.0, v17
	v_add_f32_e32 v21, -1.0, v18
	v_sub_f32_e32 v17, v17, v21
	v_mul_f32_e32 v21, v20, v19
	v_mul_f32_e32 v22, v18, v21
	v_fma_f32 v18, v21, v18, -v22
	v_fmac_f32_e32 v18, v21, v17
	v_add_f32_e32 v17, v22, v18
	v_sub_f32_e32 v23, v20, v17
	v_sub_f32_e32 v22, v17, v22
	;; [unrolled: 1-line block ×5, first 2 shown]
	v_add_f32_e32 v17, v18, v17
	v_add_f32_e32 v17, v23, v17
	v_mul_f32_e32 v17, v19, v17
	v_add_f32_e32 v19, v21, v17
	v_sub_f32_e32 v18, v19, v21
	v_sub_f32_e32 v20, v17, v18
	v_mul_f32_e32 v17, v19, v19
	v_fma_f32 v18, v19, v19, -v17
	v_add_f32_e32 v21, v20, v20
	v_fmac_f32_e32 v18, v19, v21
	v_add_f32_e32 v21, v17, v18
	v_sub_f32_e32 v17, v21, v17
	v_sub_f32_e32 v17, v18, v17
	v_mul_f32_e32 v18, v19, v21
	v_fma_f32 v23, v21, v19, -v18
	v_fmac_f32_e32 v23, v21, v20
	v_mov_b32_e32 v22, 0x3e91f4c4
	v_fmac_f32_e32 v23, v17, v19
	v_fmac_f32_e32 v22, 0x3e76c4e1, v21
	v_add_f32_e32 v24, v18, v23
	v_fma_f32 v22, v21, v22, v4
	v_sub_f32_e32 v18, v24, v18
	v_sub_f32_e32 v23, v23, v18
	v_mul_f32_e32 v18, v21, v22
	v_fma_f32 v21, v21, v22, -v18
	v_fmac_f32_e32 v21, v17, v22
	v_add_f32_e32 v22, v18, v21
	v_sub_f32_e32 v26, v22, v18
	v_cvt_f64_f32_e64 v[17:18], |v15|
	v_add_f32_e32 v25, 0x3f2aaaaa, v22
	v_sub_f32_e32 v21, v21, v26
	v_add_f32_e32 v26, 0xbf2aaaaa, v25
	v_frexp_exp_i32_f64_e32 v17, v[17:18]
	v_add_f32_e32 v21, 0x31739010, v21
	v_sub_f32_e32 v18, v22, v26
	v_add_f32_e32 v18, v21, v18
	v_add_f32_e32 v21, v25, v18
	v_sub_f32_e32 v22, v25, v21
	v_add_f32_e32 v18, v18, v22
	v_mul_f32_e32 v22, v24, v21
	v_subbrev_co_u32_e32 v17, vcc, 0, v17, vcc
	v_cvt_f32_i32_e32 v17, v17
	v_fma_f32 v25, v24, v21, -v22
	v_fmac_f32_e32 v25, v24, v18
	v_fmac_f32_e32 v25, v23, v21
	v_mul_f32_e32 v18, 0x3f317218, v17
	v_fma_f32 v21, v17, s29, -v18
	v_fmac_f32_e32 v21, 0xb102e308, v17
	v_ldexp_f32 v17, v20, 1
	v_add_f32_e32 v20, v18, v21
	v_sub_f32_e32 v18, v20, v18
	v_ldexp_f32 v19, v19, 1
	v_sub_f32_e32 v18, v21, v18
	v_add_f32_e32 v21, v22, v25
	v_sub_f32_e32 v22, v21, v22
	v_add_f32_e32 v23, v19, v21
	v_sub_f32_e32 v22, v25, v22
	v_sub_f32_e32 v19, v23, v19
	;; [unrolled: 1-line block ×3, first 2 shown]
	v_add_f32_e32 v17, v17, v22
	v_add_f32_e32 v17, v17, v19
	;; [unrolled: 1-line block ×3, first 2 shown]
	v_sub_f32_e32 v21, v19, v23
	v_sub_f32_e32 v17, v17, v21
	v_add_f32_e32 v21, v20, v19
	v_sub_f32_e32 v22, v21, v20
	v_sub_f32_e32 v23, v21, v22
	;; [unrolled: 1-line block ×4, first 2 shown]
	v_add_f32_e32 v19, v19, v20
	v_add_f32_e32 v20, v18, v17
	v_sub_f32_e32 v22, v20, v18
	v_sub_f32_e32 v23, v20, v22
	v_sub_f32_e32 v18, v18, v23
	v_sub_f32_e32 v17, v17, v22
	v_add_f32_e32 v17, v17, v18
	v_add_f32_e32 v18, v20, v19
	;; [unrolled: 1-line block ×3, first 2 shown]
	v_sub_f32_e32 v20, v19, v21
	v_sub_f32_e32 v18, v18, v20
	v_add_f32_e32 v17, v17, v18
	v_add_f32_e32 v18, v19, v17
	v_sub_f32_e32 v19, v18, v19
	v_sub_f32_e32 v17, v17, v19
	v_mul_f32_e32 v19, v16, v18
	v_fma_f32 v18, v16, v18, -v19
	v_fmac_f32_e32 v18, v16, v17
	v_add_f32_e32 v17, v19, v18
	v_cmp_class_f32_e64 vcc, v19, s30
	v_sub_f32_e32 v20, v17, v19
	v_cndmask_b32_e32 v17, v17, v19, vcc
	v_cmp_eq_f32_e32 vcc, s33, v17
	v_cndmask_b32_e32 v19, 0, v6, vcc
	v_sub_f32_e32 v18, v18, v20
	v_sub_f32_e32 v20, v17, v19
	v_mul_f32_e32 v21, 0x3fb8aa3b, v20
	v_fma_f32 v22, v20, s34, -v21
	v_rndne_f32_e32 v23, v21
	v_fmac_f32_e32 v22, 0x32a5705f, v20
	v_sub_f32_e32 v21, v21, v23
	v_add_f32_e32 v21, v21, v22
	v_exp_f32_e32 v21, v21
	v_cvt_i32_f32_e32 v22, v23
	v_cmp_neq_f32_e64 vcc, |v17|, s31
	v_cndmask_b32_e32 v17, 0, v18, vcc
	v_cmp_ngt_f32_e32 vcc, s35, v20
	v_ldexp_f32 v18, v21, v22
	v_cndmask_b32_e32 v18, 0, v18, vcc
	v_cmp_nlt_f32_e32 vcc, s33, v20
	v_add_f32_e32 v17, v19, v17
	v_cndmask_b32_e32 v18, v7, v18, vcc
	v_fma_f32 v17, v18, v17, v18
	v_cmp_class_f32_e64 vcc, v18, s30
	v_cndmask_b32_e32 v17, v17, v18, vcc
	v_trunc_f32_e32 v18, v16
	v_cmp_eq_f32_e32 vcc, v18, v16
	v_mul_f32_e32 v16, 0.5, v16
	v_trunc_f32_e32 v18, v16
	v_cmp_neq_f32_e64 s[12:13], v18, v16
	s_and_b64 s[12:13], vcc, s[12:13]
	v_cndmask_b32_e64 v16, 1.0, v15, s[12:13]
	v_bfi_b32 v16, s36, v17, v16
	v_cndmask_b32_e32 v17, v11, v16, vcc
	v_cmp_gt_f32_e32 vcc, 0, v15
	v_cndmask_b32_e32 v16, v16, v17, vcc
	v_cmp_eq_f32_e32 vcc, 0, v15
	v_cmp_class_f32_e64 s[14:15], v15, s30
	v_cndmask_b32_e64 v17, v7, 0, vcc
	v_cndmask_b32_e64 v18, 0, v15, s[12:13]
	v_bfi_b32 v17, s36, v17, v18
	s_or_b64 vcc, vcc, s[14:15]
	v_cndmask_b32_e32 v16, v16, v17, vcc
	v_cmp_o_f32_e32 vcc, v15, v15
	v_cndmask_b32_e32 v15, v11, v16, vcc
	v_mul_f32_e32 v14, v15, v14
.LBB0_16:                               ;   in Loop: Header=BB0_12 Depth=2
	s_andn2_b64 vcc, exec, s[24:25]
	s_cbranch_vccnz .LBB0_30
; %bb.17:                               ;   in Loop: Header=BB0_12 Depth=2
	s_mul_i32 s39, s38, s37
	s_mov_b32 s40, 0
	s_andn2_b64 vcc, exec, s[26:27]
	s_sub_i32 s41, s17, s40
	v_mov_b32_e32 v15, 1.0
	s_cbranch_vccnz .LBB0_24
.LBB0_18:                               ;   in Loop: Header=BB0_12 Depth=2
	s_mov_b32 s12, s41
	s_mov_b32 s13, s40
	;; [unrolled: 1-line block ×3, first 2 shown]
	v_cvt_f32_u32_e32 v16, s14
	s_cmp_lt_i32 s13, 2
	v_mul_f32_e32 v15, v15, v16
	s_cbranch_scc0 .LBB0_21
.LBB0_19:                               ;   in Loop: Header=BB0_12 Depth=2
	s_cmp_lt_i32 s12, 2
	s_cbranch_scc0 .LBB0_22
.LBB0_20:                               ;   in Loop: Header=BB0_12 Depth=2
	s_add_i32 s15, s14, -1
	s_cmp_gt_u32 s14, 1
	s_cbranch_scc1 .LBB0_23
	s_branch .LBB0_24
.LBB0_21:                               ;   in Loop: Header=BB0_12 Depth=2
	v_cvt_f32_u32_e32 v16, s13
	s_add_i32 s13, s13, -1
	v_div_scale_f32 v17, s[42:43], v16, v16, v15
	v_div_scale_f32 v18, vcc, v15, v16, v15
	v_rcp_f32_e32 v19, v17
	v_fma_f32 v20, -v17, v19, 1.0
	v_fmac_f32_e32 v19, v20, v19
	v_mul_f32_e32 v20, v18, v19
	v_fma_f32 v21, -v17, v20, v18
	v_fmac_f32_e32 v20, v21, v19
	v_fma_f32 v17, -v17, v20, v18
	v_div_fmas_f32 v17, v17, v19, v20
	v_div_fixup_f32 v15, v17, v16, v15
	s_cmp_lt_i32 s12, 2
	s_cbranch_scc1 .LBB0_20
.LBB0_22:                               ;   in Loop: Header=BB0_12 Depth=2
	v_cvt_f32_u32_e32 v16, s12
	s_add_i32 s12, s12, -1
	v_div_scale_f32 v17, s[42:43], v16, v16, v15
	v_div_scale_f32 v18, vcc, v15, v16, v15
	v_rcp_f32_e32 v19, v17
	v_fma_f32 v20, -v17, v19, 1.0
	v_fmac_f32_e32 v19, v20, v19
	v_mul_f32_e32 v20, v18, v19
	v_fma_f32 v21, -v17, v20, v18
	v_fmac_f32_e32 v20, v21, v19
	v_fma_f32 v17, -v17, v20, v18
	v_div_fmas_f32 v17, v17, v19, v20
	v_div_fixup_f32 v15, v17, v16, v15
	s_add_i32 s15, s14, -1
	s_cmp_gt_u32 s14, 1
	s_cbranch_scc0 .LBB0_24
.LBB0_23:                               ;   in Loop: Header=BB0_12 Depth=2
	s_mov_b32 s14, s15
	v_cvt_f32_u32_e32 v16, s14
	s_cmp_lt_i32 s13, 2
	v_mul_f32_e32 v15, v15, v16
	s_cbranch_scc0 .LBB0_21
	s_branch .LBB0_19
.LBB0_24:                               ;   Parent Loop BB0_4 Depth=1
                                        ;     Parent Loop BB0_12 Depth=2
                                        ; =>    This Inner Loop Header: Depth=3
	s_cmp_eq_u32 s40, 0
	s_cbranch_scc1 .LBB0_26
; %bb.25:                               ;   in Loop: Header=BB0_24 Depth=3
	v_cvt_f32_u32_e32 v16, s40
	v_cndmask_b32_e64 v17, v16, 1.0, s[8:9]
	v_cmp_neq_f32_e32 vcc, 0, v17
	v_cndmask_b32_e32 v16, 1.0, v12, vcc
	v_frexp_mant_f32_e64 v18, |v16|
	v_cmp_gt_f32_e32 vcc, s28, v18
	v_cndmask_b32_e64 v19, 1.0, 2.0, vcc
	v_mul_f32_e32 v18, v18, v19
	v_add_f32_e32 v20, 1.0, v18
	v_add_f32_e32 v21, -1.0, v20
	v_add_f32_e32 v19, -1.0, v18
	v_sub_f32_e32 v18, v18, v21
	v_rcp_f32_e32 v21, v20
	v_cmp_class_f32_e64 s[14:15], v16, s30
	v_mul_f32_e32 v22, v19, v21
	v_mul_f32_e32 v23, v20, v22
	v_fma_f32 v20, v22, v20, -v23
	v_fmac_f32_e32 v20, v22, v18
	v_add_f32_e32 v18, v23, v20
	v_sub_f32_e32 v24, v19, v18
	v_sub_f32_e32 v23, v18, v23
	;; [unrolled: 1-line block ×5, first 2 shown]
	v_add_f32_e32 v18, v19, v18
	v_add_f32_e32 v18, v24, v18
	v_mul_f32_e32 v18, v21, v18
	v_add_f32_e32 v20, v22, v18
	v_sub_f32_e32 v19, v20, v22
	v_sub_f32_e32 v21, v18, v19
	v_mul_f32_e32 v18, v20, v20
	v_fma_f32 v19, v20, v20, -v18
	v_add_f32_e32 v22, v21, v21
	v_fmac_f32_e32 v19, v20, v22
	v_add_f32_e32 v22, v18, v19
	v_sub_f32_e32 v18, v22, v18
	v_sub_f32_e32 v18, v19, v18
	v_mul_f32_e32 v19, v20, v22
	v_fma_f32 v24, v22, v20, -v19
	v_fmac_f32_e32 v24, v22, v21
	v_mov_b32_e32 v23, 0x3e91f4c4
	v_fmac_f32_e32 v24, v18, v20
	v_fmac_f32_e32 v23, 0x3e76c4e1, v22
	v_add_f32_e32 v25, v19, v24
	v_fma_f32 v23, v22, v23, v4
	v_sub_f32_e32 v19, v25, v19
	v_sub_f32_e32 v19, v24, v19
	v_mul_f32_e32 v24, v22, v23
	v_fma_f32 v22, v22, v23, -v24
	v_fmac_f32_e32 v22, v18, v23
	v_add_f32_e32 v18, v24, v22
	v_add_f32_e32 v23, 0x3f2aaaaa, v18
	v_sub_f32_e32 v24, v18, v24
	v_sub_f32_e32 v22, v22, v24
	v_add_f32_e32 v24, 0xbf2aaaaa, v23
	v_add_f32_e32 v22, 0x31739010, v22
	v_sub_f32_e32 v18, v18, v24
	v_add_f32_e32 v18, v22, v18
	v_add_f32_e32 v22, v23, v18
	v_sub_f32_e32 v23, v23, v22
	v_add_f32_e32 v18, v18, v23
	v_mul_f32_e32 v23, v25, v22
	v_fma_f32 v24, v25, v22, -v23
	v_fmac_f32_e32 v24, v25, v18
	v_fmac_f32_e32 v24, v19, v22
	v_cvt_f64_f32_e64 v[18:19], |v16|
	v_ldexp_f32 v20, v20, 1
	v_frexp_exp_i32_f64_e32 v18, v[18:19]
	v_subbrev_co_u32_e32 v18, vcc, 0, v18, vcc
	v_cvt_f32_i32_e32 v18, v18
	v_mul_f32_e32 v19, 0x3f317218, v18
	v_fma_f32 v22, v18, s29, -v19
	v_fmac_f32_e32 v22, 0xb102e308, v18
	v_ldexp_f32 v18, v21, 1
	v_add_f32_e32 v21, v19, v22
	v_sub_f32_e32 v19, v21, v19
	v_sub_f32_e32 v19, v22, v19
	v_add_f32_e32 v22, v23, v24
	v_sub_f32_e32 v23, v22, v23
	v_sub_f32_e32 v23, v24, v23
	v_add_f32_e32 v24, v20, v22
	v_sub_f32_e32 v20, v24, v20
	v_sub_f32_e32 v20, v22, v20
	v_add_f32_e32 v18, v18, v23
	v_add_f32_e32 v18, v18, v20
	;; [unrolled: 1-line block ×3, first 2 shown]
	v_sub_f32_e32 v22, v20, v24
	v_sub_f32_e32 v18, v18, v22
	v_add_f32_e32 v22, v21, v20
	v_sub_f32_e32 v23, v22, v21
	v_sub_f32_e32 v24, v22, v23
	;; [unrolled: 1-line block ×4, first 2 shown]
	v_add_f32_e32 v20, v20, v21
	v_add_f32_e32 v21, v19, v18
	v_sub_f32_e32 v23, v21, v19
	v_sub_f32_e32 v24, v21, v23
	;; [unrolled: 1-line block ×4, first 2 shown]
	v_add_f32_e32 v18, v18, v19
	v_add_f32_e32 v19, v21, v20
	;; [unrolled: 1-line block ×3, first 2 shown]
	v_sub_f32_e32 v21, v20, v22
	v_sub_f32_e32 v19, v19, v21
	v_add_f32_e32 v18, v18, v19
	v_add_f32_e32 v19, v20, v18
	v_sub_f32_e32 v20, v19, v20
	v_sub_f32_e32 v18, v18, v20
	v_mul_f32_e32 v20, v17, v19
	v_fma_f32 v19, v17, v19, -v20
	v_fmac_f32_e32 v19, v17, v18
	v_add_f32_e32 v18, v20, v19
	v_cmp_class_f32_e64 vcc, v20, s30
	v_sub_f32_e32 v21, v18, v20
	v_cndmask_b32_e32 v18, v18, v20, vcc
	v_sub_f32_e32 v19, v19, v21
	v_cmp_neq_f32_e64 vcc, |v18|, s31
	v_cndmask_b32_e32 v19, 0, v19, vcc
	v_cmp_eq_f32_e32 vcc, s33, v18
	v_cndmask_b32_e32 v20, 0, v6, vcc
	v_sub_f32_e32 v18, v18, v20
	v_add_f32_e32 v19, v20, v19
	v_mul_f32_e32 v20, 0x3fb8aa3b, v18
	v_fma_f32 v21, v18, s34, -v20
	v_rndne_f32_e32 v22, v20
	v_fmac_f32_e32 v21, 0x32a5705f, v18
	v_sub_f32_e32 v20, v20, v22
	v_add_f32_e32 v20, v20, v21
	v_exp_f32_e32 v20, v20
	v_cvt_i32_f32_e32 v21, v22
	v_cmp_ngt_f32_e32 vcc, s35, v18
	v_ldexp_f32 v20, v20, v21
	v_cndmask_b32_e32 v20, 0, v20, vcc
	v_cmp_nlt_f32_e32 vcc, s33, v18
	v_cndmask_b32_e32 v18, v7, v20, vcc
	v_fma_f32 v19, v18, v19, v18
	v_cmp_class_f32_e64 vcc, v18, s30
	v_cndmask_b32_e32 v18, v19, v18, vcc
	v_trunc_f32_e32 v19, v17
	v_cmp_eq_f32_e32 vcc, v19, v17
	v_mul_f32_e32 v17, 0.5, v17
	v_trunc_f32_e32 v19, v17
	v_cmp_neq_f32_e64 s[12:13], v19, v17
	s_and_b64 vcc, vcc, s[12:13]
	v_cndmask_b32_e32 v17, 1.0, v16, vcc
	v_cmp_eq_f32_e64 s[12:13], 0, v16
	v_bfi_b32 v17, s36, v18, v17
	v_cndmask_b32_e64 v18, v7, 0, s[12:13]
	v_cndmask_b32_e32 v19, 0, v16, vcc
	s_or_b64 s[14:15], s[12:13], s[14:15]
	v_bfi_b32 v18, s36, v18, v19
	v_cndmask_b32_e64 v17, v17, v18, s[14:15]
	v_cmp_o_f32_e32 vcc, v16, v16
	v_cndmask_b32_e32 v16, v11, v17, vcc
	v_mul_f32_e32 v15, v16, v15
.LBB0_26:                               ;   in Loop: Header=BB0_24 Depth=3
	s_cmp_lt_i32 s41, 1
	s_cbranch_scc1 .LBB0_28
; %bb.27:                               ;   in Loop: Header=BB0_24 Depth=3
	v_cvt_f32_u32_e32 v16, s41
	v_cndmask_b32_e64 v17, v16, 1.0, s[10:11]
	v_cmp_neq_f32_e32 vcc, 0, v17
	v_cndmask_b32_e32 v16, 1.0, v13, vcc
	v_frexp_mant_f32_e64 v18, |v16|
	v_cmp_gt_f32_e32 vcc, s28, v18
	v_cndmask_b32_e64 v19, 1.0, 2.0, vcc
	v_mul_f32_e32 v18, v18, v19
	v_add_f32_e32 v20, 1.0, v18
	v_add_f32_e32 v21, -1.0, v20
	v_add_f32_e32 v19, -1.0, v18
	v_sub_f32_e32 v18, v18, v21
	v_rcp_f32_e32 v21, v20
	v_cmp_gt_f32_e64 s[14:15], 0, v16
	v_mul_f32_e32 v22, v19, v21
	v_mul_f32_e32 v23, v20, v22
	v_fma_f32 v20, v22, v20, -v23
	v_fmac_f32_e32 v20, v22, v18
	v_add_f32_e32 v18, v23, v20
	v_sub_f32_e32 v24, v19, v18
	v_sub_f32_e32 v23, v18, v23
	;; [unrolled: 1-line block ×5, first 2 shown]
	v_add_f32_e32 v18, v19, v18
	v_add_f32_e32 v18, v24, v18
	v_mul_f32_e32 v18, v21, v18
	v_add_f32_e32 v20, v22, v18
	v_sub_f32_e32 v19, v20, v22
	v_sub_f32_e32 v21, v18, v19
	v_mul_f32_e32 v18, v20, v20
	v_fma_f32 v19, v20, v20, -v18
	v_add_f32_e32 v22, v21, v21
	v_fmac_f32_e32 v19, v20, v22
	v_add_f32_e32 v22, v18, v19
	v_sub_f32_e32 v18, v22, v18
	v_sub_f32_e32 v18, v19, v18
	v_mul_f32_e32 v19, v20, v22
	v_fma_f32 v24, v22, v20, -v19
	v_fmac_f32_e32 v24, v22, v21
	v_mov_b32_e32 v23, 0x3e91f4c4
	v_fmac_f32_e32 v24, v18, v20
	v_fmac_f32_e32 v23, 0x3e76c4e1, v22
	v_add_f32_e32 v25, v19, v24
	v_fma_f32 v23, v22, v23, v4
	v_sub_f32_e32 v19, v25, v19
	v_sub_f32_e32 v19, v24, v19
	v_mul_f32_e32 v24, v22, v23
	v_fma_f32 v22, v22, v23, -v24
	v_fmac_f32_e32 v22, v18, v23
	v_add_f32_e32 v18, v24, v22
	v_add_f32_e32 v23, 0x3f2aaaaa, v18
	v_sub_f32_e32 v24, v18, v24
	v_sub_f32_e32 v22, v22, v24
	v_add_f32_e32 v24, 0xbf2aaaaa, v23
	v_add_f32_e32 v22, 0x31739010, v22
	v_sub_f32_e32 v18, v18, v24
	v_add_f32_e32 v18, v22, v18
	v_add_f32_e32 v22, v23, v18
	v_sub_f32_e32 v23, v23, v22
	v_add_f32_e32 v18, v18, v23
	v_mul_f32_e32 v23, v25, v22
	v_fma_f32 v24, v25, v22, -v23
	v_fmac_f32_e32 v24, v25, v18
	v_fmac_f32_e32 v24, v19, v22
	v_cvt_f64_f32_e64 v[18:19], |v16|
	v_ldexp_f32 v20, v20, 1
	v_frexp_exp_i32_f64_e32 v18, v[18:19]
	v_subbrev_co_u32_e32 v18, vcc, 0, v18, vcc
	v_cvt_f32_i32_e32 v18, v18
	v_mul_f32_e32 v19, 0x3f317218, v18
	v_fma_f32 v22, v18, s29, -v19
	v_fmac_f32_e32 v22, 0xb102e308, v18
	v_ldexp_f32 v18, v21, 1
	v_add_f32_e32 v21, v19, v22
	v_sub_f32_e32 v19, v21, v19
	v_sub_f32_e32 v19, v22, v19
	v_add_f32_e32 v22, v23, v24
	v_sub_f32_e32 v23, v22, v23
	v_sub_f32_e32 v23, v24, v23
	;; [unrolled: 3-line block ×3, first 2 shown]
	v_add_f32_e32 v18, v18, v23
	v_add_f32_e32 v18, v18, v20
	;; [unrolled: 1-line block ×3, first 2 shown]
	v_sub_f32_e32 v22, v20, v24
	v_sub_f32_e32 v18, v18, v22
	v_add_f32_e32 v22, v21, v20
	v_sub_f32_e32 v23, v22, v21
	v_sub_f32_e32 v24, v22, v23
	;; [unrolled: 1-line block ×4, first 2 shown]
	v_add_f32_e32 v20, v20, v21
	v_add_f32_e32 v21, v19, v18
	v_sub_f32_e32 v23, v21, v19
	v_sub_f32_e32 v24, v21, v23
	;; [unrolled: 1-line block ×4, first 2 shown]
	v_add_f32_e32 v18, v18, v19
	v_add_f32_e32 v19, v21, v20
	;; [unrolled: 1-line block ×3, first 2 shown]
	v_sub_f32_e32 v21, v20, v22
	v_sub_f32_e32 v19, v19, v21
	v_add_f32_e32 v18, v18, v19
	v_add_f32_e32 v19, v20, v18
	v_sub_f32_e32 v20, v19, v20
	v_sub_f32_e32 v18, v18, v20
	v_mul_f32_e32 v20, v17, v19
	v_fma_f32 v19, v17, v19, -v20
	v_fmac_f32_e32 v19, v17, v18
	v_add_f32_e32 v18, v20, v19
	v_cmp_class_f32_e64 vcc, v20, s30
	v_sub_f32_e32 v21, v18, v20
	v_cndmask_b32_e32 v18, v18, v20, vcc
	v_sub_f32_e32 v19, v19, v21
	v_cmp_neq_f32_e64 vcc, |v18|, s31
	v_cndmask_b32_e32 v19, 0, v19, vcc
	v_cmp_eq_f32_e32 vcc, s33, v18
	v_cndmask_b32_e32 v20, 0, v6, vcc
	v_sub_f32_e32 v18, v18, v20
	v_add_f32_e32 v19, v20, v19
	v_mul_f32_e32 v20, 0x3fb8aa3b, v18
	v_fma_f32 v21, v18, s34, -v20
	v_rndne_f32_e32 v22, v20
	v_fmac_f32_e32 v21, 0x32a5705f, v18
	v_sub_f32_e32 v20, v20, v22
	v_add_f32_e32 v20, v20, v21
	v_exp_f32_e32 v20, v20
	v_cvt_i32_f32_e32 v21, v22
	v_cmp_ngt_f32_e32 vcc, s35, v18
	v_ldexp_f32 v20, v20, v21
	v_cndmask_b32_e32 v20, 0, v20, vcc
	v_cmp_nlt_f32_e32 vcc, s33, v18
	v_cndmask_b32_e32 v18, v7, v20, vcc
	v_fma_f32 v19, v18, v19, v18
	v_cmp_class_f32_e64 vcc, v18, s30
	v_cndmask_b32_e32 v18, v19, v18, vcc
	v_trunc_f32_e32 v19, v17
	v_cmp_eq_f32_e32 vcc, v19, v17
	v_mul_f32_e32 v17, 0.5, v17
	v_trunc_f32_e32 v19, v17
	v_cmp_neq_f32_e64 s[12:13], v19, v17
	s_and_b64 s[12:13], vcc, s[12:13]
	v_cndmask_b32_e64 v17, 1.0, v16, s[12:13]
	v_bfi_b32 v17, s36, v18, v17
	v_cndmask_b32_e32 v18, v11, v17, vcc
	v_cmp_eq_f32_e32 vcc, 0, v16
	v_cndmask_b32_e64 v17, v17, v18, s[14:15]
	v_cmp_class_f32_e64 s[14:15], v16, s30
	v_cndmask_b32_e64 v18, v7, 0, vcc
	v_cndmask_b32_e64 v19, 0, v16, s[12:13]
	s_or_b64 s[14:15], vcc, s[14:15]
	v_bfi_b32 v18, s36, v18, v19
	v_cndmask_b32_e64 v17, v17, v18, s[14:15]
	v_cmp_o_f32_e32 vcc, v16, v16
	v_cndmask_b32_e32 v16, v11, v17, vcc
	v_mul_f32_e32 v15, v16, v15
.LBB0_28:                               ;   in Loop: Header=BB0_24 Depth=3
	s_add_i32 s12, s40, s39
	s_mul_hi_u32 s13, s12, 12
	s_mul_i32 s12, s12, 12
	s_waitcnt lgkmcnt(0)
	s_add_u32 s12, s20, s12
	s_addc_u32 s13, s21, s13
	global_load_dwordx3 v[16:18], v5, s[12:13]
	s_add_i32 s12, s40, 1
	s_cmp_lg_u32 s17, s40
	s_waitcnt vmcnt(0)
	v_mul_f32_e32 v16, v14, v16
	v_mul_f32_e32 v17, v14, v17
	;; [unrolled: 1-line block ×3, first 2 shown]
	v_fmac_f32_e32 v0, v15, v16
	v_fmac_f32_e32 v1, v15, v17
	;; [unrolled: 1-line block ×3, first 2 shown]
	s_cbranch_scc0 .LBB0_30
; %bb.29:                               ;   in Loop: Header=BB0_24 Depth=3
	s_mov_b32 s40, s12
	s_andn2_b64 vcc, exec, s[26:27]
	s_sub_i32 s41, s17, s40
	v_mov_b32_e32 v15, 1.0
	s_cbranch_vccz .LBB0_18
	s_branch .LBB0_24
.LBB0_30:                               ;   in Loop: Header=BB0_12 Depth=2
	s_add_i32 s12, s38, 1
	s_cmp_lg_u32 s16, s38
	s_cbranch_scc0 .LBB0_3
; %bb.31:                               ;   in Loop: Header=BB0_12 Depth=2
	s_mov_b32 s38, s12
	s_and_b64 vcc, exec, s[2:3]
	s_sub_i32 s14, s16, s38
	v_mov_b32_e32 v14, 1.0
	s_cbranch_vccz .LBB0_6
	s_branch .LBB0_12
.LBB0_32:
	s_endpgm
	.section	.rodata,"a",@progbits
	.p2align	6, 0x0
	.amdhsa_kernel _Z9BezierGPUPK3XYZPS_iiii
		.amdhsa_group_segment_fixed_size 0
		.amdhsa_private_segment_fixed_size 0
		.amdhsa_kernarg_size 288
		.amdhsa_user_sgpr_count 6
		.amdhsa_user_sgpr_private_segment_buffer 1
		.amdhsa_user_sgpr_dispatch_ptr 0
		.amdhsa_user_sgpr_queue_ptr 0
		.amdhsa_user_sgpr_kernarg_segment_ptr 1
		.amdhsa_user_sgpr_dispatch_id 0
		.amdhsa_user_sgpr_flat_scratch_init 0
		.amdhsa_user_sgpr_private_segment_size 0
		.amdhsa_uses_dynamic_stack 0
		.amdhsa_system_sgpr_private_segment_wavefront_offset 0
		.amdhsa_system_sgpr_workgroup_id_x 1
		.amdhsa_system_sgpr_workgroup_id_y 0
		.amdhsa_system_sgpr_workgroup_id_z 0
		.amdhsa_system_sgpr_workgroup_info 0
		.amdhsa_system_vgpr_workitem_id 0
		.amdhsa_next_free_vgpr 27
		.amdhsa_next_free_sgpr 44
		.amdhsa_reserve_vcc 1
		.amdhsa_reserve_flat_scratch 0
		.amdhsa_float_round_mode_32 0
		.amdhsa_float_round_mode_16_64 0
		.amdhsa_float_denorm_mode_32 3
		.amdhsa_float_denorm_mode_16_64 3
		.amdhsa_dx10_clamp 1
		.amdhsa_ieee_mode 1
		.amdhsa_fp16_overflow 0
		.amdhsa_exception_fp_ieee_invalid_op 0
		.amdhsa_exception_fp_denorm_src 0
		.amdhsa_exception_fp_ieee_div_zero 0
		.amdhsa_exception_fp_ieee_overflow 0
		.amdhsa_exception_fp_ieee_underflow 0
		.amdhsa_exception_fp_ieee_inexact 0
		.amdhsa_exception_int_div_zero 0
	.end_amdhsa_kernel
	.text
.Lfunc_end0:
	.size	_Z9BezierGPUPK3XYZPS_iiii, .Lfunc_end0-_Z9BezierGPUPK3XYZPS_iiii
                                        ; -- End function
	.set _Z9BezierGPUPK3XYZPS_iiii.num_vgpr, 27
	.set _Z9BezierGPUPK3XYZPS_iiii.num_agpr, 0
	.set _Z9BezierGPUPK3XYZPS_iiii.numbered_sgpr, 44
	.set _Z9BezierGPUPK3XYZPS_iiii.num_named_barrier, 0
	.set _Z9BezierGPUPK3XYZPS_iiii.private_seg_size, 0
	.set _Z9BezierGPUPK3XYZPS_iiii.uses_vcc, 1
	.set _Z9BezierGPUPK3XYZPS_iiii.uses_flat_scratch, 0
	.set _Z9BezierGPUPK3XYZPS_iiii.has_dyn_sized_stack, 0
	.set _Z9BezierGPUPK3XYZPS_iiii.has_recursion, 0
	.set _Z9BezierGPUPK3XYZPS_iiii.has_indirect_call, 0
	.section	.AMDGPU.csdata,"",@progbits
; Kernel info:
; codeLenInByte = 4352
; TotalNumSgprs: 48
; NumVgprs: 27
; ScratchSize: 0
; MemoryBound: 0
; FloatMode: 240
; IeeeMode: 1
; LDSByteSize: 0 bytes/workgroup (compile time only)
; SGPRBlocks: 5
; VGPRBlocks: 6
; NumSGPRsForWavesPerEU: 48
; NumVGPRsForWavesPerEU: 27
; Occupancy: 9
; WaveLimiterHint : 0
; COMPUTE_PGM_RSRC2:SCRATCH_EN: 0
; COMPUTE_PGM_RSRC2:USER_SGPR: 6
; COMPUTE_PGM_RSRC2:TRAP_HANDLER: 0
; COMPUTE_PGM_RSRC2:TGID_X_EN: 1
; COMPUTE_PGM_RSRC2:TGID_Y_EN: 0
; COMPUTE_PGM_RSRC2:TGID_Z_EN: 0
; COMPUTE_PGM_RSRC2:TIDIG_COMP_CNT: 0
	.section	.AMDGPU.gpr_maximums,"",@progbits
	.set amdgpu.max_num_vgpr, 0
	.set amdgpu.max_num_agpr, 0
	.set amdgpu.max_num_sgpr, 0
	.section	.AMDGPU.csdata,"",@progbits
	.type	__hip_cuid_ac76a77be9e519aa,@object ; @__hip_cuid_ac76a77be9e519aa
	.section	.bss,"aw",@nobits
	.globl	__hip_cuid_ac76a77be9e519aa
__hip_cuid_ac76a77be9e519aa:
	.byte	0                               ; 0x0
	.size	__hip_cuid_ac76a77be9e519aa, 1

	.ident	"AMD clang version 22.0.0git (https://github.com/RadeonOpenCompute/llvm-project roc-7.2.4 26084 f58b06dce1f9c15707c5f808fd002e18c2accf7e)"
	.section	".note.GNU-stack","",@progbits
	.addrsig
	.addrsig_sym __hip_cuid_ac76a77be9e519aa
	.amdgpu_metadata
---
amdhsa.kernels:
  - .args:
      - .address_space:  global
        .offset:         0
        .size:           8
        .value_kind:     global_buffer
      - .address_space:  global
        .offset:         8
        .size:           8
        .value_kind:     global_buffer
      - .offset:         16
        .size:           4
        .value_kind:     by_value
      - .offset:         20
        .size:           4
        .value_kind:     by_value
      - .offset:         24
        .size:           4
        .value_kind:     by_value
      - .offset:         28
        .size:           4
        .value_kind:     by_value
      - .offset:         32
        .size:           4
        .value_kind:     hidden_block_count_x
      - .offset:         36
        .size:           4
        .value_kind:     hidden_block_count_y
      - .offset:         40
        .size:           4
        .value_kind:     hidden_block_count_z
      - .offset:         44
        .size:           2
        .value_kind:     hidden_group_size_x
      - .offset:         46
        .size:           2
        .value_kind:     hidden_group_size_y
      - .offset:         48
        .size:           2
        .value_kind:     hidden_group_size_z
      - .offset:         50
        .size:           2
        .value_kind:     hidden_remainder_x
      - .offset:         52
        .size:           2
        .value_kind:     hidden_remainder_y
      - .offset:         54
        .size:           2
        .value_kind:     hidden_remainder_z
      - .offset:         72
        .size:           8
        .value_kind:     hidden_global_offset_x
      - .offset:         80
        .size:           8
        .value_kind:     hidden_global_offset_y
      - .offset:         88
        .size:           8
        .value_kind:     hidden_global_offset_z
      - .offset:         96
        .size:           2
        .value_kind:     hidden_grid_dims
    .group_segment_fixed_size: 0
    .kernarg_segment_align: 8
    .kernarg_segment_size: 288
    .language:       OpenCL C
    .language_version:
      - 2
      - 0
    .max_flat_workgroup_size: 1024
    .name:           _Z9BezierGPUPK3XYZPS_iiii
    .private_segment_fixed_size: 0
    .sgpr_count:     48
    .sgpr_spill_count: 0
    .symbol:         _Z9BezierGPUPK3XYZPS_iiii.kd
    .uniform_work_group_size: 1
    .uses_dynamic_stack: false
    .vgpr_count:     27
    .vgpr_spill_count: 0
    .wavefront_size: 64
amdhsa.target:   amdgcn-amd-amdhsa--gfx906
amdhsa.version:
  - 1
  - 2
...

	.end_amdgpu_metadata
